;; amdgpu-corpus repo=huggingface/hf-rocm-kernels kind=compiled arch=gfx942 opt=O3
	.text
	.amdgcn_target "amdgcn-amd-amdhsa--gfx942"
	.amdhsa_code_object_version 6
	.protected	_Z18_swiglu_vectorizedPK6__halfPKfPhPS_iii ; -- Begin function _Z18_swiglu_vectorizedPK6__halfPKfPhPS_iii
	.globl	_Z18_swiglu_vectorizedPK6__halfPKfPhPS_iii
	.p2align	8
	.type	_Z18_swiglu_vectorizedPK6__halfPKfPhPS_iii,@function
_Z18_swiglu_vectorizedPK6__halfPKfPhPS_iii: ; @_Z18_swiglu_vectorizedPK6__halfPKfPhPS_iii
; %bb.0:
	s_load_dwordx4 s[4:7], s[0:1], 0x20
	s_load_dwordx2 s[12:13], s[0:1], 0x18
	s_load_dword s3, s[0:1], 0x3c
	s_load_dword s16, s[0:1], 0x30
	s_waitcnt lgkmcnt(0)
	s_ashr_i32 s7, s5, 31
	s_lshr_b32 s8, s7, 29
	s_add_i32 s8, s5, s8
	s_ashr_i32 s19, s8, 3
	s_add_u32 s17, s0, 48
	s_addc_u32 s18, s1, 0
	s_abs_i32 s8, s19
	v_cvt_f32_u32_e32 v1, s8
	s_and_b32 s3, s3, 0xffff
	s_mul_i32 s3, s2, s3
	v_rcp_iflag_f32_e32 v2, v1
	v_add_u32_e32 v1, s3, v0
	s_sub_i32 s3, 0, s8
	v_sub_u32_e32 v4, 0, v1
	v_mul_f32_e32 v2, 0x4f7ffffe, v2
	v_cvt_u32_f32_e32 v2, v2
	v_max_i32_e32 v4, v1, v4
	v_xor_b32_e32 v3, s19, v1
	v_ashrrev_i32_e32 v3, 31, v3
	v_mul_lo_u32 v5, s3, v2
	v_mul_hi_u32 v5, v2, v5
	v_add_u32_e32 v2, v2, v5
	v_mul_hi_u32 v2, v4, v2
	v_mul_lo_u32 v5, v2, s8
	v_sub_u32_e32 v4, v4, v5
	v_add_u32_e32 v5, 1, v2
	v_cmp_le_u32_e32 vcc, s8, v4
	s_mul_i32 s3, s6, s4
	s_nop 0
	v_cndmask_b32_e32 v2, v2, v5, vcc
	v_subrev_u32_e32 v5, s8, v4
	v_cndmask_b32_e32 v4, v4, v5, vcc
	v_add_u32_e32 v5, 1, v2
	v_cmp_le_u32_e32 vcc, s8, v4
	s_nop 1
	v_cndmask_b32_e32 v2, v2, v5, vcc
	v_xor_b32_e32 v2, v2, v3
	v_sub_u32_e32 v8, v2, v3
	v_cmp_le_i32_e32 vcc, s4, v8
	s_and_saveexec_b64 s[8:9], vcc
	s_xor_b64 s[8:9], exec, s[8:9]
	s_cbranch_execz .LBB0_4
; %bb.1:
	s_cmp_lt_u32 s2, s16
	s_cselect_b32 s4, 12, 18
	s_add_u32 s10, s17, s4
	s_addc_u32 s11, s18, 0
	v_mov_b32_e32 v2, 0
	global_load_ushort v3, v2, s[10:11]
                                        ; implicit-def: $vgpr8
	s_waitcnt vmcnt(0)
	v_readfirstlane_b32 s4, v3
	s_mul_i32 s4, s16, s4
	s_nop 0
	v_cvt_f32_u32_e32 v1, s4
	s_sub_i32 s10, 0, s4
	s_add_i32 s6, s3, s4
	s_add_i32 s6, s6, -1
	v_rcp_iflag_f32_e32 v1, v1
	s_nop 0
	v_mul_f32_e32 v1, 0x4f7ffffe, v1
	v_cvt_u32_f32_e32 v1, v1
	s_nop 0
	v_readfirstlane_b32 s11, v1
	s_mul_i32 s10, s10, s11
	s_mul_hi_u32 s10, s11, s10
	s_add_i32 s11, s11, s10
	s_mul_hi_u32 s10, s6, s11
	s_mul_i32 s11, s10, s4
	s_sub_i32 s6, s6, s11
	s_add_i32 s14, s10, 1
	s_sub_i32 s11, s6, s4
	s_cmp_ge_u32 s6, s4
	s_cselect_b32 s10, s14, s10
	s_cselect_b32 s6, s11, s6
	s_add_i32 s11, s10, 1
	s_cmp_ge_u32 s6, s4
	s_cselect_b32 s6, s11, s10
	s_cmp_lt_i32 s6, 1
                                        ; implicit-def: $vgpr1
	s_cbranch_scc1 .LBB0_4
; %bb.2:
	s_abs_i32 s4, s3
	v_cvt_f32_u32_e32 v1, s4
	s_add_i32 s6, s6, 7
	v_mul_lo_u32 v5, s2, v3
	s_lshr_b32 s6, s6, 3
	v_rcp_iflag_f32_e32 v1, v1
	v_add_u32_e32 v0, v5, v0
	s_sub_i32 s10, 0, s4
	v_mul_lo_u32 v0, s6, v0
	v_mul_f32_e32 v1, 0x4f7ffffe, v1
	v_cvt_u32_f32_e32 v1, v1
	v_lshlrev_b32_e32 v6, 3, v0
	v_mov_b32_e32 v3, v2
	v_mov_b32_e32 v4, v2
	v_mul_lo_u32 v0, s10, v1
	v_mul_hi_u32 v0, v1, v0
	v_add_u32_e32 v7, v1, v0
	v_mov_b32_e32 v5, v2
                                        ; implicit-def: $vgpr8
                                        ; implicit-def: $vgpr1
                                        ; implicit-def: $vgpr0
.LBB0_3:                                ; =>This Inner Loop Header: Depth=1
	v_sub_u32_e32 v10, 0, v6
	v_max_i32_e32 v10, v6, v10
	v_mul_hi_u32 v11, v10, v7
	v_mul_lo_u32 v11, v11, s4
	v_sub_u32_e32 v10, v10, v11
	v_subrev_u32_e32 v11, s4, v10
	v_cmp_le_u32_e32 vcc, s4, v10
	v_ashrrev_i32_e32 v9, 31, v6
	s_add_i32 s6, s6, -1
	v_cndmask_b32_e32 v10, v10, v11, vcc
	v_subrev_u32_e32 v11, s4, v10
	v_cmp_le_u32_e32 vcc, s4, v10
	v_add_u32_e32 v6, 8, v6
	s_cmp_eq_u32 s6, 0
	v_cndmask_b32_e32 v10, v10, v11, vcc
	v_xor_b32_e32 v10, v10, v9
	v_sub_u32_e32 v10, v10, v9
	v_ashrrev_i32_e32 v11, 31, v10
	v_lshl_add_u64 v[10:11], v[10:11], 1, s[12:13]
	global_store_dwordx4 v[10:11], v[2:5], off
	s_cbranch_scc0 .LBB0_3
.LBB0_4:
	s_andn2_saveexec_b64 s[8:9], s[8:9]
	s_cbranch_execz .LBB0_8
; %bb.5:
	s_load_dwordx4 s[8:11], s[0:1], 0x0
	s_load_dwordx2 s[14:15], s[0:1], 0x10
	v_mul_lo_u32 v2, v8, s19
	v_mul_lo_u32 v14, v8, s5
	v_sub_u32_e32 v1, v1, v2
	v_lshlrev_b32_e32 v2, 1, v14
	v_ashrrev_i32_e32 v3, 31, v2
	v_lshlrev_b32_e32 v12, 3, v1
	s_waitcnt lgkmcnt(0)
	v_lshl_add_u64 v[2:3], v[2:3], 1, s[8:9]
	v_ashrrev_i32_e32 v13, 31, v12
	v_lshl_add_u64 v[2:3], v[12:13], 1, v[2:3]
	global_load_dwordx4 v[8:11], v[2:3], off
	s_mov_b32 s6, s5
	v_lshl_add_u64 v[2:3], s[6:7], 1, v[2:3]
	global_load_dwordx4 v[4:7], v[2:3], off
	s_load_dword s4, s[10:11], 0x0
	s_mov_b32 s8, 0xbfb8aa3b
	s_mov_b32 s9, 0xc2fc0000
	v_mov_b32_e32 v3, 0x42800000
	v_mov_b32_e32 v1, 0x1f800000
	s_waitcnt lgkmcnt(0)
	v_div_scale_f32 v16, s[0:1], s4, s4, 1.0
	v_rcp_f32_e32 v19, v16
	v_div_scale_f32 v20, vcc, 1.0, s4, 1.0
	v_mov_b32_e32 v17, 0
	v_fma_f32 v21, -v16, v19, 1.0
	v_fmac_f32_e32 v19, v21, v19
	v_mul_f32_e32 v21, v20, v19
	v_fma_f32 v22, -v16, v21, v20
	v_fmac_f32_e32 v21, v22, v19
	v_fma_f32 v16, -v16, v21, v20
	v_div_fmas_f32 v16, v16, v19, v21
	v_div_fixup_f32 v16, v16, s4, 1.0
	v_cmp_neq_f32_e64 vcc, s4, 0
	s_mov_b32 s19, 0x43600000
	v_mov_b32_e32 v18, 0xc3600000
	v_cndmask_b32_e32 v16, 1.0, v16, vcc
	s_cmp_lt_u32 s2, s16
	v_mov_b32_e32 v2, 0
	v_ashrrev_i32_e32 v15, 31, v14
	v_lshl_add_u64 v[14:15], s[14:15], 0, v[14:15]
	s_waitcnt vmcnt(1)
	v_cvt_f32_f16_e32 v20, v8
	v_cvt_f32_f16_sdwa v21, v8 dst_sel:DWORD dst_unused:UNUSED_PAD src0_sel:WORD_1
	v_cvt_f32_f16_e32 v8, v9
	v_cvt_f32_f16_sdwa v9, v9 dst_sel:DWORD dst_unused:UNUSED_PAD src0_sel:WORD_1
	s_waitcnt vmcnt(0)
	v_cvt_f32_f16_e32 v22, v4
	v_pk_mul_f32 v[24:25], v[20:21], s[8:9] op_sel_hi:[1,0]
	v_cvt_f32_f16_sdwa v23, v4 dst_sel:DWORD dst_unused:UNUSED_PAD src0_sel:WORD_1
	v_cmp_gt_f32_e32 vcc, s9, v25
	v_cmp_gt_f32_e64 s[0:1], s9, v24
	v_pk_mul_f32 v[26:27], v[8:9], s[8:9] op_sel_hi:[1,0]
	v_cndmask_b32_e32 v4, 0, v3, vcc
	v_cndmask_b32_e64 v19, 0, v3, s[0:1]
	v_add_f32_e32 v4, v25, v4
	v_add_f32_e32 v19, v24, v19
	v_cmp_gt_f32_e64 s[4:5], s9, v27
	v_exp_f32_e32 v4, v4
	v_exp_f32_e32 v19, v19
	v_cndmask_b32_e64 v28, 0, v3, s[4:5]
	v_add_f32_e32 v27, v27, v28
	v_cndmask_b32_e32 v25, 1.0, v1, vcc
	v_cndmask_b32_e64 v24, 1.0, v1, s[0:1]
	v_exp_f32_e32 v27, v27
	v_mul_f32_e32 v25, v4, v25
	v_mul_f32_e32 v24, v19, v24
	v_pk_add_f32 v[24:25], v[24:25], 1.0 op_sel_hi:[1,0]
	v_cmp_gt_f32_e64 s[6:7], s9, v26
	v_cndmask_b32_e64 v28, 1.0, v1, s[4:5]
	v_div_scale_f32 v4, s[0:1], v25, v25, v21
	v_cndmask_b32_e64 v29, 0, v3, s[6:7]
	v_mul_f32_e32 v27, v27, v28
	v_div_scale_f32 v28, s[0:1], v24, v24, v20
	v_rcp_f32_e32 v31, v4
	v_add_f32_e32 v26, v26, v29
	v_rcp_f32_e32 v32, v28
	v_exp_f32_e32 v26, v26
	v_fma_f32 v35, -v4, v31, 1.0
	v_cndmask_b32_e64 v29, 1.0, v1, s[6:7]
	v_div_scale_f32 v19, vcc, v21, v25, v21
	v_fma_f32 v36, -v28, v32, 1.0
	v_fmac_f32_e32 v31, v35, v31
	v_mul_f32_e32 v26, v26, v29
	v_div_scale_f32 v29, s[0:1], v20, v24, v20
	v_fmac_f32_e32 v32, v36, v32
	v_mul_f32_e32 v35, v19, v31
	v_mul_f32_e32 v36, v29, v32
	v_fma_f32 v38, -v4, v35, v19
	v_pk_add_f32 v[26:27], v[26:27], 1.0 op_sel_hi:[1,0]
	v_fma_f32 v39, -v28, v36, v29
	v_fmac_f32_e32 v35, v38, v31
	v_div_scale_f32 v30, s[4:5], v27, v27, v9
	v_fmac_f32_e32 v36, v39, v32
	v_fma_f32 v4, -v4, v35, v19
	v_rcp_f32_e32 v33, v30
	v_fma_f32 v19, -v28, v36, v29
	v_div_fmas_f32 v4, v4, v31, v35
	s_mov_b64 vcc, s[0:1]
	v_div_fixup_f32 v21, v4, v25, v21
	v_div_fmas_f32 v4, v19, v32, v36
	v_div_fixup_f32 v20, v4, v24, v20
	v_pk_mul_f32 v[20:21], v[20:21], v[22:23]
	v_fma_f32 v37, -v30, v33, 1.0
	v_pk_mul_f32 v[20:21], v[16:17], v[20:21] op_sel_hi:[0,1]
	v_div_scale_f32 v34, s[4:5], v9, v27, v9
	v_fmac_f32_e32 v33, v37, v33
	v_med3_f32 v4, v20, s19, v18
	v_med3_f32 v19, v21, s19, v18
	v_mul_f32_e32 v37, v34, v33
	v_cvt_pk_fp8_f32 v17, v4, v19
	v_div_scale_f32 v19, s[0:1], v26, v26, v8
	v_fma_f32 v40, -v30, v37, v34
	v_rcp_f32_e32 v20, v19
	v_fmac_f32_e32 v37, v40, v33
	v_fma_f32 v4, -v30, v37, v34
	s_mov_b64 vcc, s[4:5]
	v_div_fmas_f32 v4, v4, v33, v37
	v_div_fixup_f32 v9, v4, v27, v9
	v_fma_f32 v4, -v19, v20, 1.0
	v_fmac_f32_e32 v20, v4, v20
	v_div_scale_f32 v4, vcc, v8, v26, v8
	v_mul_f32_e32 v21, v4, v20
	v_fma_f32 v22, -v19, v21, v4
	v_fmac_f32_e32 v21, v22, v20
	v_fma_f32 v4, -v19, v21, v4
	v_div_fmas_f32 v4, v4, v20, v21
	v_cvt_f32_f16_e32 v20, v5
	v_cvt_f32_f16_sdwa v21, v5 dst_sel:DWORD dst_unused:UNUSED_PAD src0_sel:WORD_1
	v_div_fixup_f32 v8, v4, v26, v8
	v_cvt_f32_f16_e32 v4, v10
	v_cvt_f32_f16_sdwa v5, v10 dst_sel:DWORD dst_unused:UNUSED_PAD src0_sel:WORD_1
	v_pk_mul_f32 v[8:9], v[8:9], v[20:21]
	v_mov_b32_e32 v22, 0
	v_pk_mul_f32 v[20:21], v[16:17], v[8:9] op_sel_hi:[0,1]
	v_pk_mul_f32 v[8:9], v[4:5], s[8:9] op_sel_hi:[1,0]
	v_med3_f32 v10, v20, s19, v18
	v_cmp_gt_f32_e32 vcc, s9, v9
	v_cmp_gt_f32_e64 s[0:1], s9, v8
	v_med3_f32 v21, v21, s19, v18
	v_cndmask_b32_e32 v19, 0, v3, vcc
	v_add_f32_e32 v9, v9, v19
	v_cndmask_b32_e64 v19, 0, v3, s[0:1]
	v_exp_f32_e32 v9, v9
	v_add_f32_e32 v8, v8, v19
	v_exp_f32_e32 v8, v8
	v_cndmask_b32_e32 v19, 1.0, v1, vcc
	v_mul_f32_e32 v9, v9, v19
	v_cndmask_b32_e64 v19, 1.0, v1, s[0:1]
	v_mul_f32_e32 v8, v8, v19
	v_pk_add_f32 v[8:9], v[8:9], 1.0 op_sel_hi:[1,0]
	v_cvt_pk_fp8_f32 v22, v10, v21
	v_div_scale_f32 v19, s[0:1], v9, v9, v5
	v_rcp_f32_e32 v20, v19
	s_cselect_b32 s0, 12, 18
	s_add_u32 s0, s17, s0
	s_addc_u32 s1, s18, 0
	v_fma_f32 v10, -v19, v20, 1.0
	v_fmac_f32_e32 v20, v10, v20
	global_load_ushort v10, v2, s[0:1]
	v_div_scale_f32 v21, vcc, v5, v9, v5
	v_mul_f32_e32 v23, v21, v20
	v_fma_f32 v24, -v19, v23, v21
	v_fmac_f32_e32 v23, v24, v20
	v_fma_f32 v19, -v19, v23, v21
	v_div_scale_f32 v21, s[0:1], v8, v8, v4
	v_rcp_f32_e32 v24, v21
	v_div_fmas_f32 v19, v19, v20, v23
	v_div_fixup_f32 v5, v19, v9, v5
	v_fma_f32 v9, -v21, v24, 1.0
	v_fmac_f32_e32 v24, v9, v24
	v_div_scale_f32 v9, vcc, v4, v8, v4
	v_mul_f32_e32 v19, v9, v24
	v_fma_f32 v20, -v21, v19, v9
	v_fmac_f32_e32 v19, v20, v24
	v_fma_f32 v9, -v21, v19, v9
	v_div_fmas_f32 v9, v9, v24, v19
	v_cvt_f32_f16_e32 v20, v6
	v_cvt_f32_f16_sdwa v21, v6 dst_sel:DWORD dst_unused:UNUSED_PAD src0_sel:WORD_1
	v_div_fixup_f32 v4, v9, v8, v4
	v_cvt_f32_f16_e32 v8, v11
	v_cvt_f32_f16_sdwa v9, v11 dst_sel:DWORD dst_unused:UNUSED_PAD src0_sel:WORD_1
	v_pk_mul_f32 v[4:5], v[4:5], v[20:21]
	v_pk_mul_f32 v[20:21], v[8:9], s[8:9] op_sel_hi:[1,0]
	s_nop 0
	v_cmp_gt_f32_e32 vcc, s9, v21
	v_cmp_gt_f32_e64 s[0:1], s9, v20
	v_pk_mul_f32 v[4:5], v[16:17], v[4:5] op_sel_hi:[0,1]
	v_cndmask_b32_e32 v6, 0, v3, vcc
	v_cndmask_b32_e64 v3, 0, v3, s[0:1]
	v_add_f32_e32 v6, v21, v6
	v_add_f32_e32 v3, v20, v3
	v_exp_f32_e32 v6, v6
	v_exp_f32_e32 v3, v3
	v_cndmask_b32_e32 v11, 1.0, v1, vcc
	v_cndmask_b32_e64 v1, 1.0, v1, s[0:1]
	v_mul_f32_e32 v21, v6, v11
	v_mul_f32_e32 v20, v3, v1
	v_pk_add_f32 v[20:21], v[20:21], 1.0 op_sel_hi:[1,0]
	v_med3_f32 v4, v4, s19, v18
	v_div_scale_f32 v1, s[0:1], v21, v21, v9
	v_rcp_f32_e32 v3, v1
	v_med3_f32 v5, v5, s19, v18
	v_mov_b32_e32 v11, 0
	v_cvt_pk_fp8_f32 v11, v4, v5
	v_fma_f32 v4, -v1, v3, 1.0
	v_fmac_f32_e32 v3, v4, v3
	v_div_scale_f32 v4, vcc, v9, v21, v9
	v_mul_f32_e32 v5, v4, v3
	v_fma_f32 v6, -v1, v5, v4
	v_fmac_f32_e32 v5, v6, v3
	v_fma_f32 v1, -v1, v5, v4
	v_div_scale_f32 v4, s[0:1], v20, v20, v8
	v_rcp_f32_e32 v19, v4
	v_div_fmas_f32 v1, v1, v3, v5
	v_div_fixup_f32 v5, v1, v21, v9
	v_fma_f32 v1, -v4, v19, 1.0
	v_fmac_f32_e32 v19, v1, v19
	v_div_scale_f32 v1, vcc, v8, v20, v8
	v_mul_f32_e32 v3, v1, v19
	v_fma_f32 v6, -v4, v3, v1
	v_fmac_f32_e32 v3, v6, v19
	v_cvt_f32_f16_e32 v6, v7
	v_cvt_f32_f16_sdwa v7, v7 dst_sel:DWORD dst_unused:UNUSED_PAD src0_sel:WORD_1
	v_fma_f32 v1, -v4, v3, v1
	v_div_fmas_f32 v1, v1, v19, v3
	v_div_fixup_f32 v4, v1, v20, v8
	v_pk_mul_f32 v[4:5], v[4:5], v[6:7]
	v_mov_b32_e32 v7, 0
	s_waitcnt vmcnt(0)
	v_readfirstlane_b32 s0, v10
	s_mul_i32 s16, s16, s0
	v_cvt_f32_u32_e32 v6, s16
	v_pk_mul_f32 v[4:5], v[16:17], v[4:5] op_sel_hi:[0,1]
	v_med3_f32 v1, v4, s19, v18
	v_med3_f32 v3, v5, s19, v18
	v_cvt_pk_fp8_f32 v7, v1, v3
	v_rcp_iflag_f32_e32 v1, v6
	s_sub_i32 s1, 0, s16
	s_mov_b32 s0, 0x5040100
	v_perm_b32 v7, v7, v11, s0
	v_mul_f32_e32 v1, 0x4f7ffffe, v1
	v_cvt_u32_f32_e32 v1, v1
	v_perm_b32 v6, v22, v17, s0
	s_add_i32 s0, s3, s16
	s_add_i32 s0, s0, -1
	v_readfirstlane_b32 s4, v1
	s_mul_i32 s1, s1, s4
	s_mul_hi_u32 s1, s4, s1
	s_add_i32 s4, s4, s1
	s_mul_hi_u32 s1, s0, s4
	s_mul_i32 s4, s1, s16
	s_sub_i32 s0, s0, s4
	s_add_i32 s4, s1, 1
	s_sub_i32 s5, s0, s16
	s_cmp_ge_u32 s0, s16
	s_cselect_b32 s1, s4, s1
	s_cselect_b32 s0, s5, s0
	s_add_i32 s4, s1, 1
	s_cmp_ge_u32 s0, s16
	s_cselect_b32 s1, s4, s1
	v_lshl_add_u64 v[4:5], v[14:15], 0, v[12:13]
	s_cmp_lt_i32 s1, 1
	global_store_dwordx2 v[4:5], v[6:7], off
	s_cbranch_scc1 .LBB0_8
; %bb.6:
	s_abs_i32 s0, s3
	v_cvt_f32_u32_e32 v1, s0
	s_add_i32 s1, s1, 7
	v_mul_lo_u32 v3, s2, v10
	s_lshr_b32 s1, s1, 3
	v_rcp_iflag_f32_e32 v1, v1
	v_add_u32_e32 v0, v3, v0
	s_sub_i32 s2, 0, s0
	v_mul_lo_u32 v3, s1, v0
	v_mul_f32_e32 v1, 0x4f7ffffe, v1
	v_cvt_u32_f32_e32 v1, v1
	v_mul_lo_u32 v0, s2, v1
	v_mul_hi_u32 v0, v1, v0
	v_add_u32_e32 v0, v1, v0
	v_lshlrev_b32_e32 v1, 3, v3
.LBB0_7:                                ; =>This Inner Loop Header: Depth=1
	v_sub_u32_e32 v7, 0, v1
	v_max_i32_e32 v7, v1, v7
	v_mul_hi_u32 v8, v7, v0
	v_mul_lo_u32 v8, v8, s0
	v_sub_u32_e32 v7, v7, v8
	v_subrev_u32_e32 v8, s0, v7
	v_cmp_le_u32_e32 vcc, s0, v7
	v_ashrrev_i32_e32 v6, 31, v1
	s_add_i32 s1, s1, -1
	v_cndmask_b32_e32 v7, v7, v8, vcc
	v_subrev_u32_e32 v8, s0, v7
	v_cmp_le_u32_e32 vcc, s0, v7
	v_mov_b32_e32 v3, v2
	v_mov_b32_e32 v4, v2
	v_cndmask_b32_e32 v7, v7, v8, vcc
	v_xor_b32_e32 v7, v7, v6
	v_sub_u32_e32 v6, v7, v6
	v_ashrrev_i32_e32 v7, 31, v6
	v_mov_b32_e32 v5, v2
	v_add_u32_e32 v1, 8, v1
	s_cmp_eq_u32 s1, 0
	v_lshl_add_u64 v[6:7], v[6:7], 1, s[12:13]
	global_store_dwordx4 v[6:7], v[2:5], off
	s_cbranch_scc0 .LBB0_7
.LBB0_8:
	s_endpgm
	.section	.rodata,"a",@progbits
	.p2align	6, 0x0
	.amdhsa_kernel _Z18_swiglu_vectorizedPK6__halfPKfPhPS_iii
		.amdhsa_group_segment_fixed_size 0
		.amdhsa_private_segment_fixed_size 0
		.amdhsa_kernarg_size 304
		.amdhsa_user_sgpr_count 2
		.amdhsa_user_sgpr_dispatch_ptr 0
		.amdhsa_user_sgpr_queue_ptr 0
		.amdhsa_user_sgpr_kernarg_segment_ptr 1
		.amdhsa_user_sgpr_dispatch_id 0
		.amdhsa_user_sgpr_kernarg_preload_length 0
		.amdhsa_user_sgpr_kernarg_preload_offset 0
		.amdhsa_user_sgpr_private_segment_size 0
		.amdhsa_uses_dynamic_stack 0
		.amdhsa_enable_private_segment 0
		.amdhsa_system_sgpr_workgroup_id_x 1
		.amdhsa_system_sgpr_workgroup_id_y 0
		.amdhsa_system_sgpr_workgroup_id_z 0
		.amdhsa_system_sgpr_workgroup_info 0
		.amdhsa_system_vgpr_workitem_id 0
		.amdhsa_next_free_vgpr 41
		.amdhsa_next_free_sgpr 20
		.amdhsa_accum_offset 44
		.amdhsa_reserve_vcc 1
		.amdhsa_float_round_mode_32 0
		.amdhsa_float_round_mode_16_64 0
		.amdhsa_float_denorm_mode_32 3
		.amdhsa_float_denorm_mode_16_64 3
		.amdhsa_dx10_clamp 1
		.amdhsa_ieee_mode 1
		.amdhsa_fp16_overflow 0
		.amdhsa_tg_split 0
		.amdhsa_exception_fp_ieee_invalid_op 0
		.amdhsa_exception_fp_denorm_src 0
		.amdhsa_exception_fp_ieee_div_zero 0
		.amdhsa_exception_fp_ieee_overflow 0
		.amdhsa_exception_fp_ieee_underflow 0
		.amdhsa_exception_fp_ieee_inexact 0
		.amdhsa_exception_int_div_zero 0
	.end_amdhsa_kernel
	.text
.Lfunc_end0:
	.size	_Z18_swiglu_vectorizedPK6__halfPKfPhPS_iii, .Lfunc_end0-_Z18_swiglu_vectorizedPK6__halfPKfPhPS_iii
                                        ; -- End function
	.section	.AMDGPU.csdata,"",@progbits
; Kernel info:
; codeLenInByte = 2396
; NumSgprs: 26
; NumVgprs: 41
; NumAgprs: 0
; TotalNumVgprs: 41
; ScratchSize: 0
; MemoryBound: 0
; FloatMode: 240
; IeeeMode: 1
; LDSByteSize: 0 bytes/workgroup (compile time only)
; SGPRBlocks: 3
; VGPRBlocks: 5
; NumSGPRsForWavesPerEU: 26
; NumVGPRsForWavesPerEU: 41
; AccumOffset: 44
; Occupancy: 8
; WaveLimiterHint : 0
; COMPUTE_PGM_RSRC2:SCRATCH_EN: 0
; COMPUTE_PGM_RSRC2:USER_SGPR: 2
; COMPUTE_PGM_RSRC2:TRAP_HANDLER: 0
; COMPUTE_PGM_RSRC2:TGID_X_EN: 1
; COMPUTE_PGM_RSRC2:TGID_Y_EN: 0
; COMPUTE_PGM_RSRC2:TGID_Z_EN: 0
; COMPUTE_PGM_RSRC2:TIDIG_COMP_CNT: 0
; COMPUTE_PGM_RSRC3_GFX90A:ACCUM_OFFSET: 10
; COMPUTE_PGM_RSRC3_GFX90A:TG_SPLIT: 0
	.text
	.p2alignl 6, 3212836864
	.fill 256, 4, 3212836864
	.type	__hip_cuid_c44dfc248f2494d5,@object ; @__hip_cuid_c44dfc248f2494d5
	.section	.bss,"aw",@nobits
	.globl	__hip_cuid_c44dfc248f2494d5
__hip_cuid_c44dfc248f2494d5:
	.byte	0                               ; 0x0
	.size	__hip_cuid_c44dfc248f2494d5, 1

	.ident	"AMD clang version 19.0.0git (https://github.com/RadeonOpenCompute/llvm-project roc-6.4.0 25133 c7fe45cf4b819c5991fe208aaa96edf142730f1d)"
	.section	".note.GNU-stack","",@progbits
	.addrsig
	.addrsig_sym __hip_cuid_c44dfc248f2494d5
	.amdgpu_metadata
---
amdhsa.kernels:
  - .agpr_count:     0
    .args:
      - .actual_access:  read_only
        .address_space:  global
        .offset:         0
        .size:           8
        .value_kind:     global_buffer
      - .actual_access:  read_only
        .address_space:  global
        .offset:         8
        .size:           8
        .value_kind:     global_buffer
      - .actual_access:  write_only
        .address_space:  global
        .offset:         16
        .size:           8
        .value_kind:     global_buffer
      - .actual_access:  write_only
        .address_space:  global
        .offset:         24
        .size:           8
        .value_kind:     global_buffer
      - .offset:         32
        .size:           4
        .value_kind:     by_value
      - .offset:         36
        .size:           4
        .value_kind:     by_value
      - .offset:         40
        .size:           4
        .value_kind:     by_value
      - .offset:         48
        .size:           4
        .value_kind:     hidden_block_count_x
      - .offset:         52
        .size:           4
        .value_kind:     hidden_block_count_y
      - .offset:         56
        .size:           4
        .value_kind:     hidden_block_count_z
      - .offset:         60
        .size:           2
        .value_kind:     hidden_group_size_x
      - .offset:         62
        .size:           2
        .value_kind:     hidden_group_size_y
      - .offset:         64
        .size:           2
        .value_kind:     hidden_group_size_z
      - .offset:         66
        .size:           2
        .value_kind:     hidden_remainder_x
      - .offset:         68
        .size:           2
        .value_kind:     hidden_remainder_y
      - .offset:         70
        .size:           2
        .value_kind:     hidden_remainder_z
      - .offset:         88
        .size:           8
        .value_kind:     hidden_global_offset_x
      - .offset:         96
        .size:           8
        .value_kind:     hidden_global_offset_y
      - .offset:         104
        .size:           8
        .value_kind:     hidden_global_offset_z
      - .offset:         112
        .size:           2
        .value_kind:     hidden_grid_dims
    .group_segment_fixed_size: 0
    .kernarg_segment_align: 8
    .kernarg_segment_size: 304
    .language:       OpenCL C
    .language_version:
      - 2
      - 0
    .max_flat_workgroup_size: 1024
    .name:           _Z18_swiglu_vectorizedPK6__halfPKfPhPS_iii
    .private_segment_fixed_size: 0
    .sgpr_count:     26
    .sgpr_spill_count: 0
    .symbol:         _Z18_swiglu_vectorizedPK6__halfPKfPhPS_iii.kd
    .uniform_work_group_size: 1
    .uses_dynamic_stack: false
    .vgpr_count:     41
    .vgpr_spill_count: 0
    .wavefront_size: 64
amdhsa.target:   amdgcn-amd-amdhsa--gfx942
amdhsa.version:
  - 1
  - 2
...

	.end_amdgpu_metadata
